;; amdgpu-corpus repo=ROCm/rocFFT kind=compiled arch=gfx906 opt=O3
	.text
	.amdgcn_target "amdgcn-amd-amdhsa--gfx906"
	.amdhsa_code_object_version 6
	.protected	fft_rtc_back_len1350_factors_5_10_3_3_3_wgs_135_tpt_135_halfLds_dp_ip_CI_unitstride_sbrr_C2R_dirReg ; -- Begin function fft_rtc_back_len1350_factors_5_10_3_3_3_wgs_135_tpt_135_halfLds_dp_ip_CI_unitstride_sbrr_C2R_dirReg
	.globl	fft_rtc_back_len1350_factors_5_10_3_3_3_wgs_135_tpt_135_halfLds_dp_ip_CI_unitstride_sbrr_C2R_dirReg
	.p2align	8
	.type	fft_rtc_back_len1350_factors_5_10_3_3_3_wgs_135_tpt_135_halfLds_dp_ip_CI_unitstride_sbrr_C2R_dirReg,@function
fft_rtc_back_len1350_factors_5_10_3_3_3_wgs_135_tpt_135_halfLds_dp_ip_CI_unitstride_sbrr_C2R_dirReg: ; @fft_rtc_back_len1350_factors_5_10_3_3_3_wgs_135_tpt_135_halfLds_dp_ip_CI_unitstride_sbrr_C2R_dirReg
; %bb.0:
	s_load_dwordx2 s[12:13], s[4:5], 0x50
	s_load_dwordx4 s[8:11], s[4:5], 0x0
	s_load_dwordx2 s[2:3], s[4:5], 0x18
	v_mul_u32_u24_e32 v1, 0x1e6, v0
	v_add_u32_sdwa v5, s6, v1 dst_sel:DWORD dst_unused:UNUSED_PAD src0_sel:DWORD src1_sel:WORD_1
	v_mov_b32_e32 v3, 0
	s_waitcnt lgkmcnt(0)
	v_cmp_lt_u64_e64 s[0:1], s[10:11], 2
	v_mov_b32_e32 v1, 0
	v_mov_b32_e32 v6, v3
	s_and_b64 vcc, exec, s[0:1]
	v_mov_b32_e32 v2, 0
	s_cbranch_vccnz .LBB0_8
; %bb.1:
	s_load_dwordx2 s[0:1], s[4:5], 0x10
	s_add_u32 s6, s2, 8
	s_addc_u32 s7, s3, 0
	v_mov_b32_e32 v1, 0
	v_mov_b32_e32 v2, 0
	s_waitcnt lgkmcnt(0)
	s_add_u32 s14, s0, 8
	s_addc_u32 s15, s1, 0
	s_mov_b64 s[16:17], 1
.LBB0_2:                                ; =>This Inner Loop Header: Depth=1
	s_load_dwordx2 s[18:19], s[14:15], 0x0
                                        ; implicit-def: $vgpr7_vgpr8
	s_waitcnt lgkmcnt(0)
	v_or_b32_e32 v4, s19, v6
	v_cmp_ne_u64_e32 vcc, 0, v[3:4]
	s_and_saveexec_b64 s[0:1], vcc
	s_xor_b64 s[20:21], exec, s[0:1]
	s_cbranch_execz .LBB0_4
; %bb.3:                                ;   in Loop: Header=BB0_2 Depth=1
	v_cvt_f32_u32_e32 v4, s18
	v_cvt_f32_u32_e32 v7, s19
	s_sub_u32 s0, 0, s18
	s_subb_u32 s1, 0, s19
	v_mac_f32_e32 v4, 0x4f800000, v7
	v_rcp_f32_e32 v4, v4
	v_mul_f32_e32 v4, 0x5f7ffffc, v4
	v_mul_f32_e32 v7, 0x2f800000, v4
	v_trunc_f32_e32 v7, v7
	v_mac_f32_e32 v4, 0xcf800000, v7
	v_cvt_u32_f32_e32 v7, v7
	v_cvt_u32_f32_e32 v4, v4
	v_mul_lo_u32 v8, s0, v7
	v_mul_hi_u32 v9, s0, v4
	v_mul_lo_u32 v11, s1, v4
	v_mul_lo_u32 v10, s0, v4
	v_add_u32_e32 v8, v9, v8
	v_add_u32_e32 v8, v8, v11
	v_mul_hi_u32 v9, v4, v10
	v_mul_lo_u32 v11, v4, v8
	v_mul_hi_u32 v13, v4, v8
	v_mul_hi_u32 v12, v7, v10
	v_mul_lo_u32 v10, v7, v10
	v_mul_hi_u32 v14, v7, v8
	v_add_co_u32_e32 v9, vcc, v9, v11
	v_addc_co_u32_e32 v11, vcc, 0, v13, vcc
	v_mul_lo_u32 v8, v7, v8
	v_add_co_u32_e32 v9, vcc, v9, v10
	v_addc_co_u32_e32 v9, vcc, v11, v12, vcc
	v_addc_co_u32_e32 v10, vcc, 0, v14, vcc
	v_add_co_u32_e32 v8, vcc, v9, v8
	v_addc_co_u32_e32 v9, vcc, 0, v10, vcc
	v_add_co_u32_e32 v4, vcc, v4, v8
	v_addc_co_u32_e32 v7, vcc, v7, v9, vcc
	v_mul_lo_u32 v8, s0, v7
	v_mul_hi_u32 v9, s0, v4
	v_mul_lo_u32 v10, s1, v4
	v_mul_lo_u32 v11, s0, v4
	v_add_u32_e32 v8, v9, v8
	v_add_u32_e32 v8, v8, v10
	v_mul_lo_u32 v12, v4, v8
	v_mul_hi_u32 v13, v4, v11
	v_mul_hi_u32 v14, v4, v8
	;; [unrolled: 1-line block ×3, first 2 shown]
	v_mul_lo_u32 v11, v7, v11
	v_mul_hi_u32 v9, v7, v8
	v_add_co_u32_e32 v12, vcc, v13, v12
	v_addc_co_u32_e32 v13, vcc, 0, v14, vcc
	v_mul_lo_u32 v8, v7, v8
	v_add_co_u32_e32 v11, vcc, v12, v11
	v_addc_co_u32_e32 v10, vcc, v13, v10, vcc
	v_addc_co_u32_e32 v9, vcc, 0, v9, vcc
	v_add_co_u32_e32 v8, vcc, v10, v8
	v_addc_co_u32_e32 v9, vcc, 0, v9, vcc
	v_add_co_u32_e32 v4, vcc, v4, v8
	v_addc_co_u32_e32 v9, vcc, v7, v9, vcc
	v_mad_u64_u32 v[7:8], s[0:1], v5, v9, 0
	v_mul_hi_u32 v10, v5, v4
	v_add_co_u32_e32 v11, vcc, v10, v7
	v_addc_co_u32_e32 v12, vcc, 0, v8, vcc
	v_mad_u64_u32 v[7:8], s[0:1], v6, v4, 0
	v_mad_u64_u32 v[9:10], s[0:1], v6, v9, 0
	v_add_co_u32_e32 v4, vcc, v11, v7
	v_addc_co_u32_e32 v4, vcc, v12, v8, vcc
	v_addc_co_u32_e32 v7, vcc, 0, v10, vcc
	v_add_co_u32_e32 v4, vcc, v4, v9
	v_addc_co_u32_e32 v9, vcc, 0, v7, vcc
	v_mul_lo_u32 v10, s19, v4
	v_mul_lo_u32 v11, s18, v9
	v_mad_u64_u32 v[7:8], s[0:1], s18, v4, 0
	v_add3_u32 v8, v8, v11, v10
	v_sub_u32_e32 v10, v6, v8
	v_mov_b32_e32 v11, s19
	v_sub_co_u32_e32 v7, vcc, v5, v7
	v_subb_co_u32_e64 v10, s[0:1], v10, v11, vcc
	v_subrev_co_u32_e64 v11, s[0:1], s18, v7
	v_subbrev_co_u32_e64 v10, s[0:1], 0, v10, s[0:1]
	v_cmp_le_u32_e64 s[0:1], s19, v10
	v_cndmask_b32_e64 v12, 0, -1, s[0:1]
	v_cmp_le_u32_e64 s[0:1], s18, v11
	v_cndmask_b32_e64 v11, 0, -1, s[0:1]
	v_cmp_eq_u32_e64 s[0:1], s19, v10
	v_cndmask_b32_e64 v10, v12, v11, s[0:1]
	v_add_co_u32_e64 v11, s[0:1], 2, v4
	v_addc_co_u32_e64 v12, s[0:1], 0, v9, s[0:1]
	v_add_co_u32_e64 v13, s[0:1], 1, v4
	v_addc_co_u32_e64 v14, s[0:1], 0, v9, s[0:1]
	v_subb_co_u32_e32 v8, vcc, v6, v8, vcc
	v_cmp_ne_u32_e64 s[0:1], 0, v10
	v_cmp_le_u32_e32 vcc, s19, v8
	v_cndmask_b32_e64 v10, v14, v12, s[0:1]
	v_cndmask_b32_e64 v12, 0, -1, vcc
	v_cmp_le_u32_e32 vcc, s18, v7
	v_cndmask_b32_e64 v7, 0, -1, vcc
	v_cmp_eq_u32_e32 vcc, s19, v8
	v_cndmask_b32_e32 v7, v12, v7, vcc
	v_cmp_ne_u32_e32 vcc, 0, v7
	v_cndmask_b32_e64 v7, v13, v11, s[0:1]
	v_cndmask_b32_e32 v8, v9, v10, vcc
	v_cndmask_b32_e32 v7, v4, v7, vcc
.LBB0_4:                                ;   in Loop: Header=BB0_2 Depth=1
	s_andn2_saveexec_b64 s[0:1], s[20:21]
	s_cbranch_execz .LBB0_6
; %bb.5:                                ;   in Loop: Header=BB0_2 Depth=1
	v_cvt_f32_u32_e32 v4, s18
	s_sub_i32 s20, 0, s18
	v_rcp_iflag_f32_e32 v4, v4
	v_mul_f32_e32 v4, 0x4f7ffffe, v4
	v_cvt_u32_f32_e32 v4, v4
	v_mul_lo_u32 v7, s20, v4
	v_mul_hi_u32 v7, v4, v7
	v_add_u32_e32 v4, v4, v7
	v_mul_hi_u32 v4, v5, v4
	v_mul_lo_u32 v7, v4, s18
	v_add_u32_e32 v8, 1, v4
	v_sub_u32_e32 v7, v5, v7
	v_subrev_u32_e32 v9, s18, v7
	v_cmp_le_u32_e32 vcc, s18, v7
	v_cndmask_b32_e32 v7, v7, v9, vcc
	v_cndmask_b32_e32 v4, v4, v8, vcc
	v_add_u32_e32 v8, 1, v4
	v_cmp_le_u32_e32 vcc, s18, v7
	v_cndmask_b32_e32 v7, v4, v8, vcc
	v_mov_b32_e32 v8, v3
.LBB0_6:                                ;   in Loop: Header=BB0_2 Depth=1
	s_or_b64 exec, exec, s[0:1]
	v_mul_lo_u32 v4, v8, s18
	v_mul_lo_u32 v11, v7, s19
	v_mad_u64_u32 v[9:10], s[0:1], v7, s18, 0
	s_load_dwordx2 s[0:1], s[6:7], 0x0
	s_add_u32 s16, s16, 1
	v_add3_u32 v4, v10, v11, v4
	v_sub_co_u32_e32 v5, vcc, v5, v9
	v_subb_co_u32_e32 v4, vcc, v6, v4, vcc
	s_waitcnt lgkmcnt(0)
	v_mul_lo_u32 v4, s0, v4
	v_mul_lo_u32 v6, s1, v5
	v_mad_u64_u32 v[1:2], s[0:1], s0, v5, v[1:2]
	s_addc_u32 s17, s17, 0
	s_add_u32 s6, s6, 8
	v_add3_u32 v2, v6, v2, v4
	v_mov_b32_e32 v4, s10
	v_mov_b32_e32 v5, s11
	s_addc_u32 s7, s7, 0
	v_cmp_ge_u64_e32 vcc, s[16:17], v[4:5]
	s_add_u32 s14, s14, 8
	s_addc_u32 s15, s15, 0
	s_cbranch_vccnz .LBB0_9
; %bb.7:                                ;   in Loop: Header=BB0_2 Depth=1
	v_mov_b32_e32 v5, v7
	v_mov_b32_e32 v6, v8
	s_branch .LBB0_2
.LBB0_8:
	v_mov_b32_e32 v8, v6
	v_mov_b32_e32 v7, v5
.LBB0_9:
	s_lshl_b64 s[0:1], s[10:11], 3
	s_add_u32 s0, s2, s0
	s_addc_u32 s1, s3, s1
	s_load_dwordx2 s[2:3], s[0:1], 0x0
	s_load_dwordx2 s[6:7], s[4:5], 0x20
	s_waitcnt lgkmcnt(0)
	v_mad_u64_u32 v[1:2], s[0:1], s2, v7, v[1:2]
	v_mul_lo_u32 v3, s2, v8
	v_mul_lo_u32 v4, s3, v7
	s_mov_b32 s0, 0x1e573ad
	v_mul_hi_u32 v5, v0, s0
	v_cmp_gt_u64_e64 s[0:1], s[6:7], v[7:8]
	v_add3_u32 v2, v4, v2, v3
	v_lshlrev_b64 v[50:51], 4, v[1:2]
	v_mul_u32_u24_e32 v3, 0x87, v5
	v_sub_u32_e32 v48, v0, v3
	s_and_saveexec_b64 s[2:3], s[0:1]
	s_cbranch_execz .LBB0_13
; %bb.10:
	v_mov_b32_e32 v49, 0
	v_mov_b32_e32 v0, s13
	v_add_co_u32_e32 v1, vcc, s12, v50
	v_lshlrev_b64 v[2:3], 4, v[48:49]
	v_addc_co_u32_e32 v0, vcc, v0, v51, vcc
	v_add_co_u32_e32 v33, vcc, v1, v2
	v_addc_co_u32_e32 v34, vcc, v0, v3, vcc
	v_add_co_u32_e32 v18, vcc, 0x1000, v33
	;; [unrolled: 2-line block ×5, first 2 shown]
	v_addc_co_u32_e32 v43, vcc, 0, v34, vcc
	global_load_dwordx4 v[2:5], v[33:34], off
	global_load_dwordx4 v[6:9], v[33:34], off offset:2160
	global_load_dwordx4 v[10:13], v[18:19], off offset:224
	;; [unrolled: 1-line block ×3, first 2 shown]
	s_nop 0
	global_load_dwordx4 v[18:21], v[26:27], off offset:448
	global_load_dwordx4 v[22:25], v[26:27], off offset:2608
	s_nop 0
	global_load_dwordx4 v[26:29], v[35:36], off offset:672
	global_load_dwordx4 v[30:33], v[35:36], off offset:2832
	;; [unrolled: 3-line block ×3, first 2 shown]
	s_movk_i32 s4, 0x86
	v_lshl_add_u32 v42, v48, 4, 0
	v_cmp_eq_u32_e32 vcc, s4, v48
	s_waitcnt vmcnt(9)
	ds_write_b128 v42, v[2:5]
	s_waitcnt vmcnt(8)
	ds_write_b128 v42, v[6:9] offset:2160
	s_waitcnt vmcnt(7)
	ds_write_b128 v42, v[10:13] offset:4320
	;; [unrolled: 2-line block ×9, first 2 shown]
	s_and_saveexec_b64 s[4:5], vcc
	s_cbranch_execz .LBB0_12
; %bb.11:
	v_add_co_u32_e32 v1, vcc, 0x5000, v1
	v_addc_co_u32_e32 v2, vcc, 0, v0, vcc
	global_load_dwordx4 v[0:3], v[1:2], off offset:1120
	v_mov_b32_e32 v48, 0x86
	s_waitcnt vmcnt(0)
	ds_write_b128 v49, v[0:3] offset:21600
.LBB0_12:
	s_or_b64 exec, exec, s[4:5]
.LBB0_13:
	s_or_b64 exec, exec, s[2:3]
	v_lshlrev_b32_e32 v0, 4, v48
	v_add_u32_e32 v54, 0, v0
	s_waitcnt lgkmcnt(0)
	s_barrier
	v_sub_u32_e32 v10, 0, v0
	ds_read_b64 v[6:7], v54
	ds_read_b64 v[8:9], v10 offset:21600
	s_add_u32 s4, s8, 0x5410
	s_addc_u32 s5, s9, 0
	v_cmp_ne_u32_e32 vcc, 0, v48
                                        ; implicit-def: $vgpr4_vgpr5
	s_waitcnt lgkmcnt(0)
	v_add_f64 v[0:1], v[6:7], v[8:9]
	v_add_f64 v[2:3], v[6:7], -v[8:9]
	s_and_saveexec_b64 s[2:3], vcc
	s_xor_b64 s[2:3], exec, s[2:3]
	s_cbranch_execz .LBB0_15
; %bb.14:
	v_mov_b32_e32 v49, 0
	v_lshlrev_b64 v[0:1], 4, v[48:49]
	v_mov_b32_e32 v2, s5
	v_add_co_u32_e32 v0, vcc, s4, v0
	v_addc_co_u32_e32 v1, vcc, v2, v1, vcc
	global_load_dwordx4 v[2:5], v[0:1], off
	ds_read_b64 v[0:1], v10 offset:21608
	ds_read_b64 v[11:12], v54 offset:8
	v_add_f64 v[13:14], v[6:7], v[8:9]
	v_add_f64 v[8:9], v[6:7], -v[8:9]
	s_waitcnt lgkmcnt(0)
	v_add_f64 v[15:16], v[0:1], v[11:12]
	v_add_f64 v[0:1], v[11:12], -v[0:1]
	s_waitcnt vmcnt(0)
	v_fma_f64 v[6:7], -v[8:9], v[4:5], v[13:14]
	v_fma_f64 v[11:12], v[15:16], v[4:5], -v[0:1]
	v_fma_f64 v[13:14], v[8:9], v[4:5], v[13:14]
	v_fma_f64 v[17:18], v[15:16], v[4:5], v[0:1]
	;; [unrolled: 1-line block ×4, first 2 shown]
	v_fma_f64 v[0:1], -v[15:16], v[2:3], v[13:14]
	v_fma_f64 v[2:3], v[8:9], v[2:3], v[17:18]
	ds_write_b128 v10, v[4:7] offset:21600
	v_mov_b32_e32 v4, v48
	v_mov_b32_e32 v5, v49
.LBB0_15:
	s_andn2_saveexec_b64 s[2:3], s[2:3]
	s_cbranch_execz .LBB0_17
; %bb.16:
	v_mov_b32_e32 v8, 0
	ds_read_b128 v[4:7], v8 offset:10800
	s_waitcnt lgkmcnt(0)
	v_add_f64 v[11:12], v[4:5], v[4:5]
	v_mul_f64 v[13:14], v[6:7], -2.0
	v_mov_b32_e32 v4, 0
	v_mov_b32_e32 v5, 0
	ds_write_b128 v8, v[11:14] offset:10800
.LBB0_17:
	s_or_b64 exec, exec, s[2:3]
	v_lshlrev_b64 v[4:5], 4, v[4:5]
	v_mov_b32_e32 v6, s5
	v_add_co_u32_e32 v23, vcc, s4, v4
	v_addc_co_u32_e32 v24, vcc, v6, v5, vcc
	global_load_dwordx4 v[4:7], v[23:24], off offset:2160
	s_movk_i32 s2, 0x1000
	v_add_co_u32_e32 v8, vcc, s2, v23
	v_addc_co_u32_e32 v9, vcc, 0, v24, vcc
	global_load_dwordx4 v[11:14], v[8:9], off offset:224
	ds_write_b128 v54, v[0:3]
	ds_read_b128 v[0:3], v54 offset:2160
	ds_read_b128 v[15:18], v10 offset:19440
	global_load_dwordx4 v[19:22], v[8:9], off offset:2384
	s_movk_i32 s2, 0x2000
	s_mov_b32 s10, 0x134454ff
	s_mov_b32 s11, 0xbfee6f0e
	s_waitcnt lgkmcnt(0)
	v_add_f64 v[8:9], v[0:1], v[15:16]
	v_add_f64 v[25:26], v[17:18], v[2:3]
	v_add_f64 v[15:16], v[0:1], -v[15:16]
	v_add_f64 v[0:1], v[2:3], -v[17:18]
	s_mov_b32 s5, 0x3fee6f0e
	s_mov_b32 s4, s10
	;; [unrolled: 1-line block ×7, first 2 shown]
	v_lshl_add_u32 v49, v48, 6, v54
	s_movk_i32 s16, 0xcd
	s_waitcnt vmcnt(2)
	v_fma_f64 v[2:3], v[15:16], v[6:7], v[8:9]
	v_fma_f64 v[17:18], v[25:26], v[6:7], v[0:1]
	v_fma_f64 v[8:9], -v[15:16], v[6:7], v[8:9]
	v_fma_f64 v[27:28], v[25:26], v[6:7], -v[0:1]
	v_fma_f64 v[0:1], -v[25:26], v[4:5], v[2:3]
	v_fma_f64 v[2:3], v[15:16], v[4:5], v[17:18]
	v_fma_f64 v[6:7], v[25:26], v[4:5], v[8:9]
	;; [unrolled: 1-line block ×3, first 2 shown]
	ds_write_b128 v54, v[0:3] offset:2160
	ds_write_b128 v10, v[6:9] offset:19440
	v_add_co_u32_e32 v8, vcc, s2, v23
	v_addc_co_u32_e32 v9, vcc, 0, v24, vcc
	ds_read_b128 v[0:3], v54 offset:4320
	ds_read_b128 v[4:7], v10 offset:17280
	global_load_dwordx4 v[15:18], v[8:9], off offset:448
	s_mov_b32 s2, s14
	v_cmp_gt_u32_e32 vcc, 45, v48
	s_waitcnt lgkmcnt(0)
	v_add_f64 v[8:9], v[0:1], v[4:5]
	v_add_f64 v[23:24], v[6:7], v[2:3]
	v_add_f64 v[25:26], v[0:1], -v[4:5]
	v_add_f64 v[0:1], v[2:3], -v[6:7]
	s_waitcnt vmcnt(2)
	v_fma_f64 v[2:3], v[25:26], v[13:14], v[8:9]
	v_fma_f64 v[4:5], v[23:24], v[13:14], v[0:1]
	v_fma_f64 v[6:7], -v[25:26], v[13:14], v[8:9]
	v_fma_f64 v[8:9], v[23:24], v[13:14], -v[0:1]
	v_fma_f64 v[0:1], -v[23:24], v[11:12], v[2:3]
	v_fma_f64 v[2:3], v[25:26], v[11:12], v[4:5]
	v_fma_f64 v[4:5], v[23:24], v[11:12], v[6:7]
	v_fma_f64 v[6:7], v[25:26], v[11:12], v[8:9]
	ds_write_b128 v54, v[0:3] offset:4320
	ds_write_b128 v10, v[4:7] offset:17280
	ds_read_b128 v[0:3], v54 offset:6480
	ds_read_b128 v[4:7], v10 offset:15120
	s_waitcnt lgkmcnt(0)
	v_add_f64 v[8:9], v[0:1], v[4:5]
	v_add_f64 v[11:12], v[6:7], v[2:3]
	v_add_f64 v[13:14], v[0:1], -v[4:5]
	v_add_f64 v[0:1], v[2:3], -v[6:7]
	s_waitcnt vmcnt(1)
	v_fma_f64 v[2:3], v[13:14], v[21:22], v[8:9]
	v_fma_f64 v[4:5], v[11:12], v[21:22], v[0:1]
	v_fma_f64 v[6:7], -v[13:14], v[21:22], v[8:9]
	v_fma_f64 v[8:9], v[11:12], v[21:22], -v[0:1]
	v_fma_f64 v[0:1], -v[11:12], v[19:20], v[2:3]
	v_fma_f64 v[2:3], v[13:14], v[19:20], v[4:5]
	v_fma_f64 v[4:5], v[11:12], v[19:20], v[6:7]
	;; [unrolled: 1-line block ×3, first 2 shown]
	ds_write_b128 v54, v[0:3] offset:6480
	ds_write_b128 v10, v[4:7] offset:15120
	ds_read_b128 v[0:3], v54 offset:8640
	ds_read_b128 v[4:7], v10 offset:12960
	s_waitcnt lgkmcnt(0)
	v_add_f64 v[8:9], v[0:1], v[4:5]
	v_add_f64 v[11:12], v[6:7], v[2:3]
	v_add_f64 v[13:14], v[0:1], -v[4:5]
	v_add_f64 v[0:1], v[2:3], -v[6:7]
	s_waitcnt vmcnt(0)
	v_fma_f64 v[2:3], v[13:14], v[17:18], v[8:9]
	v_fma_f64 v[4:5], v[11:12], v[17:18], v[0:1]
	v_fma_f64 v[6:7], -v[13:14], v[17:18], v[8:9]
	v_fma_f64 v[8:9], v[11:12], v[17:18], -v[0:1]
	v_fma_f64 v[0:1], -v[11:12], v[15:16], v[2:3]
	v_fma_f64 v[2:3], v[13:14], v[15:16], v[4:5]
	v_fma_f64 v[4:5], v[11:12], v[15:16], v[6:7]
	;; [unrolled: 1-line block ×3, first 2 shown]
	ds_write_b128 v54, v[0:3] offset:8640
	ds_write_b128 v10, v[4:7] offset:12960
	s_waitcnt lgkmcnt(0)
	s_barrier
	s_barrier
	ds_read_b128 v[12:15], v54 offset:12960
	ds_read_b128 v[8:11], v54 offset:17280
	ds_read_b128 v[24:27], v54
	ds_read_b128 v[28:31], v54 offset:2160
	ds_read_b128 v[32:35], v54 offset:4320
	;; [unrolled: 1-line block ×7, first 2 shown]
	s_waitcnt lgkmcnt(5)
	v_add_f64 v[44:45], v[24:25], v[32:33]
	s_waitcnt lgkmcnt(3)
	v_add_f64 v[46:47], v[40:41], v[12:13]
	v_add_f64 v[57:58], v[32:33], v[8:9]
	;; [unrolled: 1-line block ×5, first 2 shown]
	v_add_f64 v[20:21], v[34:35], -v[10:11]
	v_add_f64 v[22:23], v[42:43], -v[14:15]
	;; [unrolled: 1-line block ×7, first 2 shown]
	s_waitcnt lgkmcnt(1)
	v_add_f64 v[73:74], v[16:17], v[4:5]
	s_waitcnt lgkmcnt(0)
	v_add_f64 v[79:80], v[36:37], v[0:1]
	v_add_f64 v[40:41], v[44:45], v[40:41]
	;; [unrolled: 1-line block ×5, first 2 shown]
	v_fma_f64 v[46:47], v[46:47], -0.5, v[24:25]
	v_fma_f64 v[24:25], v[57:58], -0.5, v[24:25]
	;; [unrolled: 1-line block ×4, first 2 shown]
	v_add_f64 v[69:70], v[30:31], v[38:39]
	v_add_f64 v[71:72], v[28:29], v[36:37]
	v_add_f64 v[75:76], v[38:39], -v[2:3]
	v_fma_f64 v[73:74], v[73:74], -0.5, v[28:29]
	v_fma_f64 v[28:29], v[79:80], -0.5, v[28:29]
	;; [unrolled: 1-line block ×4, first 2 shown]
	v_add_f64 v[61:62], v[38:39], -v[18:19]
	v_add_f64 v[38:39], v[18:19], -v[38:39]
	;; [unrolled: 1-line block ×3, first 2 shown]
	v_add_f64 v[18:19], v[69:70], v[18:19]
	v_add_f64 v[69:70], v[12:13], -v[8:9]
	v_add_f64 v[55:56], v[8:9], -v[12:13]
	;; [unrolled: 1-line block ×5, first 2 shown]
	v_add_f64 v[12:13], v[40:41], v[12:13]
	v_add_f64 v[36:37], v[36:37], -v[0:1]
	v_add_f64 v[71:72], v[71:72], v[16:17]
	v_add_f64 v[59:60], v[59:60], v[69:70]
	v_add_f64 v[69:70], v[14:15], -v[10:11]
	v_add_f64 v[52:53], v[52:53], v[55:56]
	v_add_f64 v[55:56], v[10:11], -v[14:15]
	v_add_f64 v[14:15], v[42:43], v[14:15]
	v_add_f64 v[16:17], v[16:17], -v[4:5]
	v_fma_f64 v[40:41], v[20:21], s[10:11], v[46:47]
	v_fma_f64 v[42:43], v[20:21], s[4:5], v[46:47]
	;; [unrolled: 1-line block ×3, first 2 shown]
	v_add_f64 v[34:35], v[34:35], v[69:70]
	v_add_f64 v[69:70], v[4:5], -v[0:1]
	v_add_f64 v[55:56], v[67:68], v[55:56]
	v_add_f64 v[67:68], v[0:1], -v[4:5]
	v_fma_f64 v[24:25], v[22:23], s[10:11], v[24:25]
	v_add_f64 v[8:9], v[12:13], v[8:9]
	v_fma_f64 v[12:13], v[65:66], s[10:11], v[26:27]
	v_add_f64 v[10:11], v[14:15], v[10:11]
	;; [unrolled: 2-line block ×3, first 2 shown]
	v_add_f64 v[69:70], v[6:7], -v[2:3]
	v_add_f64 v[67:68], v[77:78], v[67:68]
	v_add_f64 v[77:78], v[2:3], -v[6:7]
	v_add_f64 v[4:5], v[71:72], v[4:5]
	v_fma_f64 v[26:27], v[75:76], s[10:11], v[73:74]
	v_fma_f64 v[71:72], v[75:76], s[4:5], v[73:74]
	;; [unrolled: 1-line block ×3, first 2 shown]
	v_add_f64 v[6:7], v[18:19], v[6:7]
	v_add_f64 v[38:39], v[38:39], v[69:70]
	v_fma_f64 v[69:70], v[32:33], s[4:5], v[57:58]
	v_fma_f64 v[57:58], v[32:33], s[10:11], v[57:58]
	;; [unrolled: 1-line block ×3, first 2 shown]
	v_add_f64 v[61:62], v[61:62], v[77:78]
	v_fma_f64 v[28:29], v[79:80], s[10:11], v[28:29]
	v_fma_f64 v[77:78], v[16:17], s[10:11], v[30:31]
	;; [unrolled: 1-line block ×20, first 2 shown]
	v_add_f64 v[0:1], v[4:5], v[0:1]
	v_add_f64 v[2:3], v[6:7], v[2:3]
	v_fma_f64 v[4:5], v[52:53], s[6:7], v[40:41]
	v_fma_f64 v[6:7], v[55:56], s[6:7], v[24:25]
	;; [unrolled: 1-line block ×12, first 2 shown]
	s_barrier
	v_fma_f64 v[28:29], v[67:68], s[6:7], v[65:66]
	v_fma_f64 v[36:37], v[63:64], s[6:7], v[71:72]
	;; [unrolled: 1-line block ×4, first 2 shown]
	ds_write_b128 v49, v[8:11]
	ds_write_b128 v49, v[0:3] offset:10800
	ds_write_b128 v49, v[4:7] offset:16
	;; [unrolled: 1-line block ×9, first 2 shown]
	v_mul_lo_u16_sdwa v0, v48, s16 dst_sel:DWORD dst_unused:UNUSED_PAD src0_sel:BYTE_0 src1_sel:DWORD
	v_lshrrev_b16_e32 v4, 10, v0
	v_mul_lo_u16_e32 v0, 5, v4
	v_sub_u16_e32 v5, v48, v0
	v_mov_b32_e32 v0, 9
	v_mul_u32_u24_sdwa v0, v5, v0 dst_sel:DWORD dst_unused:UNUSED_PAD src0_sel:BYTE_0 src1_sel:DWORD
	v_lshlrev_b32_e32 v38, 4, v0
	s_waitcnt lgkmcnt(0)
	s_barrier
	global_load_dwordx4 v[0:3], v38, s[8:9]
	global_load_dwordx4 v[6:9], v38, s[8:9] offset:16
	global_load_dwordx4 v[10:13], v38, s[8:9] offset:32
	global_load_dwordx4 v[14:17], v38, s[8:9] offset:48
	global_load_dwordx4 v[18:21], v38, s[8:9] offset:64
	global_load_dwordx4 v[22:25], v38, s[8:9] offset:80
	global_load_dwordx4 v[26:29], v38, s[8:9] offset:96
	global_load_dwordx4 v[30:33], v38, s[8:9] offset:112
	global_load_dwordx4 v[34:37], v38, s[8:9] offset:128
	ds_read_b128 v[38:41], v54 offset:2160
	ds_read_b128 v[42:45], v54
	ds_read_b128 v[55:58], v54 offset:4320
	ds_read_b128 v[59:62], v54 offset:6480
	ds_read_b128 v[63:66], v54 offset:8640
	ds_read_b128 v[67:70], v54 offset:10800
	s_mov_b32 s16, 0x9b97f4a8
	s_mov_b32 s17, 0x3fe9e377
	v_mul_u32_u24_e32 v4, 0x320, v4
	s_waitcnt vmcnt(8) lgkmcnt(5)
	v_mul_f64 v[46:47], v[40:41], v[2:3]
	s_waitcnt vmcnt(7) lgkmcnt(3)
	v_mul_f64 v[52:53], v[57:58], v[8:9]
	v_mul_f64 v[8:9], v[55:56], v[8:9]
	s_waitcnt vmcnt(6) lgkmcnt(2)
	v_mul_f64 v[71:72], v[61:62], v[12:13]
	v_mul_f64 v[12:13], v[59:60], v[12:13]
	;; [unrolled: 1-line block ×3, first 2 shown]
	s_waitcnt vmcnt(5) lgkmcnt(1)
	v_mul_f64 v[75:76], v[65:66], v[16:17]
	v_mul_f64 v[16:17], v[63:64], v[16:17]
	v_fma_f64 v[46:47], v[38:39], v[0:1], v[46:47]
	v_fma_f64 v[52:53], v[55:56], v[6:7], v[52:53]
	v_fma_f64 v[55:56], v[57:58], v[6:7], -v[8:9]
	v_fma_f64 v[57:58], v[59:60], v[10:11], v[71:72]
	v_fma_f64 v[59:60], v[61:62], v[10:11], -v[12:13]
	s_waitcnt vmcnt(4) lgkmcnt(0)
	v_mul_f64 v[61:62], v[69:70], v[20:21]
	v_mul_f64 v[20:21], v[67:68], v[20:21]
	v_fma_f64 v[73:74], v[40:41], v[0:1], -v[2:3]
	ds_read_b128 v[0:3], v54 offset:12960
	ds_read_b128 v[38:41], v54 offset:15120
	;; [unrolled: 1-line block ×4, first 2 shown]
	v_fma_f64 v[63:64], v[63:64], v[14:15], v[75:76]
	v_fma_f64 v[14:15], v[65:66], v[14:15], -v[16:17]
	s_waitcnt vmcnt(3) lgkmcnt(3)
	v_mul_f64 v[71:72], v[2:3], v[24:25]
	v_mul_f64 v[16:17], v[0:1], v[24:25]
	v_fma_f64 v[61:62], v[67:68], v[18:19], v[61:62]
	v_fma_f64 v[18:19], v[69:70], v[18:19], -v[20:21]
	s_waitcnt vmcnt(1) lgkmcnt(1)
	v_mul_f64 v[20:21], v[8:9], v[32:33]
	v_mul_f64 v[24:25], v[40:41], v[28:29]
	v_mul_f64 v[28:29], v[38:39], v[28:29]
	v_mul_f64 v[65:66], v[6:7], v[32:33]
	s_waitcnt vmcnt(0) lgkmcnt(0)
	v_mul_f64 v[32:33], v[12:13], v[36:37]
	v_mul_f64 v[36:37], v[10:11], v[36:37]
	v_fma_f64 v[0:1], v[0:1], v[22:23], v[71:72]
	v_fma_f64 v[2:3], v[2:3], v[22:23], -v[16:17]
	v_fma_f64 v[6:7], v[6:7], v[30:31], v[20:21]
	v_fma_f64 v[16:17], v[38:39], v[26:27], v[24:25]
	v_fma_f64 v[22:23], v[40:41], v[26:27], -v[28:29]
	v_fma_f64 v[8:9], v[8:9], v[30:31], -v[65:66]
	v_fma_f64 v[10:11], v[10:11], v[34:35], v[32:33]
	v_fma_f64 v[12:13], v[12:13], v[34:35], -v[36:37]
	v_add_f64 v[20:21], v[42:43], v[52:53]
	v_add_f64 v[24:25], v[63:64], v[0:1]
	v_add_f64 v[34:35], v[52:53], v[6:7]
	v_add_f64 v[40:41], v[44:45], v[55:56]
	v_add_f64 v[65:66], v[14:15], v[2:3]
	v_add_f64 v[26:27], v[55:56], -v[8:9]
	v_add_f64 v[28:29], v[14:15], -v[2:3]
	v_add_f64 v[30:31], v[52:53], -v[63:64]
	v_add_f64 v[36:37], v[63:64], -v[52:53]
	v_add_f64 v[52:53], v[52:53], -v[6:7]
	v_add_f64 v[69:70], v[55:56], -v[14:15]
	v_add_f64 v[75:76], v[55:56], v[8:9]
	v_add_f64 v[55:56], v[14:15], -v[55:56]
	v_add_f64 v[20:21], v[20:21], v[63:64]
	v_add_f64 v[14:15], v[40:41], v[14:15]
	v_fma_f64 v[24:25], v[24:25], -0.5, v[42:43]
	v_fma_f64 v[34:35], v[34:35], -0.5, v[42:43]
	;; [unrolled: 1-line block ×3, first 2 shown]
	v_add_f64 v[32:33], v[6:7], -v[0:1]
	v_add_f64 v[38:39], v[0:1], -v[6:7]
	;; [unrolled: 1-line block ×5, first 2 shown]
	v_add_f64 v[79:80], v[46:47], v[57:58]
	v_add_f64 v[63:64], v[61:62], v[16:17]
	v_fma_f64 v[44:45], v[75:76], -0.5, v[44:45]
	v_add_f64 v[0:1], v[20:21], v[0:1]
	v_fma_f64 v[20:21], v[26:27], s[10:11], v[24:25]
	v_add_f64 v[2:3], v[14:15], v[2:3]
	v_fma_f64 v[14:15], v[52:53], s[4:5], v[42:43]
	v_add_f64 v[30:31], v[30:31], v[32:33]
	v_add_f64 v[32:33], v[59:60], -v[12:13]
	v_add_f64 v[69:70], v[69:70], v[71:72]
	v_add_f64 v[65:66], v[79:80], v[61:62]
	v_fma_f64 v[63:64], v[63:64], -0.5, v[46:47]
	v_fma_f64 v[24:25], v[26:27], s[4:5], v[24:25]
	v_fma_f64 v[75:76], v[28:29], s[4:5], v[34:35]
	;; [unrolled: 1-line block ×7, first 2 shown]
	v_add_f64 v[36:37], v[36:37], v[38:39]
	v_add_f64 v[38:39], v[18:19], -v[22:23]
	v_add_f64 v[40:41], v[57:58], -v[61:62]
	;; [unrolled: 1-line block ×3, first 2 shown]
	v_fma_f64 v[44:45], v[67:68], s[4:5], v[44:45]
	v_fma_f64 v[24:25], v[28:29], s[2:3], v[24:25]
	;; [unrolled: 1-line block ×6, first 2 shown]
	v_add_f64 v[2:3], v[2:3], v[8:9]
	v_fma_f64 v[42:43], v[30:31], s[6:7], v[20:21]
	v_fma_f64 v[81:82], v[69:70], s[6:7], v[14:15]
	;; [unrolled: 1-line block ×3, first 2 shown]
	v_add_f64 v[14:15], v[18:19], v[22:23]
	v_add_f64 v[20:21], v[55:56], v[77:78]
	v_add_f64 v[0:1], v[0:1], v[6:7]
	v_fma_f64 v[67:68], v[30:31], s[6:7], v[24:25]
	v_fma_f64 v[69:70], v[69:70], s[6:7], v[34:35]
	v_add_f64 v[6:7], v[57:58], v[10:11]
	v_fma_f64 v[24:25], v[52:53], s[14:15], v[44:45]
	v_fma_f64 v[28:29], v[38:39], s[14:15], v[28:29]
	v_add_f64 v[30:31], v[40:41], v[71:72]
	v_fma_f64 v[34:35], v[32:33], s[4:5], v[63:64]
	v_fma_f64 v[14:15], v[14:15], -0.5, v[73:74]
	v_add_f64 v[40:41], v[57:58], -v[10:11]
	v_fma_f64 v[44:45], v[20:21], s[6:7], v[8:9]
	v_add_f64 v[8:9], v[59:60], v[12:13]
	v_fma_f64 v[75:76], v[36:37], s[6:7], v[75:76]
	v_fma_f64 v[36:37], v[36:37], s[6:7], v[26:27]
	v_add_f64 v[26:27], v[65:66], v[16:17]
	v_fma_f64 v[6:7], v[6:7], -0.5, v[46:47]
	v_fma_f64 v[46:47], v[20:21], s[6:7], v[24:25]
	v_fma_f64 v[24:25], v[30:31], s[6:7], v[28:29]
	;; [unrolled: 1-line block ×4, first 2 shown]
	v_add_f64 v[52:53], v[61:62], -v[16:17]
	v_add_f64 v[55:56], v[59:60], -v[18:19]
	;; [unrolled: 1-line block ×3, first 2 shown]
	v_fma_f64 v[8:9], v[8:9], -0.5, v[73:74]
	v_add_f64 v[26:27], v[26:27], v[10:11]
	v_add_f64 v[10:11], v[16:17], -v[10:11]
	v_add_f64 v[16:17], v[73:74], v[59:60]
	v_fma_f64 v[20:21], v[38:39], s[4:5], v[6:7]
	v_add_f64 v[57:58], v[61:62], -v[57:58]
	v_fma_f64 v[6:7], v[38:39], s[10:11], v[6:7]
	v_fma_f64 v[34:35], v[52:53], s[2:3], v[34:35]
	v_add_f64 v[38:39], v[55:56], v[63:64]
	v_fma_f64 v[55:56], v[52:53], s[10:11], v[8:9]
	v_add_f64 v[59:60], v[18:19], -v[59:60]
	v_add_f64 v[61:62], v[22:23], -v[12:13]
	v_fma_f64 v[8:9], v[52:53], s[4:5], v[8:9]
	v_add_f64 v[16:17], v[16:17], v[18:19]
	v_fma_f64 v[14:15], v[40:41], s[10:11], v[14:15]
	v_fma_f64 v[20:21], v[32:33], s[14:15], v[20:21]
	v_add_f64 v[10:11], v[57:58], v[10:11]
	v_fma_f64 v[6:7], v[32:33], s[2:3], v[6:7]
	v_fma_f64 v[18:19], v[38:39], s[6:7], v[34:35]
	;; [unrolled: 1-line block ×3, first 2 shown]
	v_add_f64 v[34:35], v[59:60], v[61:62]
	v_fma_f64 v[8:9], v[40:41], s[14:15], v[8:9]
	v_add_f64 v[16:17], v[16:17], v[22:23]
	v_fma_f64 v[14:15], v[52:53], s[14:15], v[14:15]
	v_fma_f64 v[22:23], v[30:31], s[6:7], v[28:29]
	;; [unrolled: 1-line block ×4, first 2 shown]
	v_mul_f64 v[10:11], v[18:19], s[14:15]
	v_fma_f64 v[30:31], v[34:35], s[6:7], v[32:33]
	v_fma_f64 v[8:9], v[34:35], s[6:7], v[8:9]
	v_add_f64 v[32:33], v[16:17], v[12:13]
	v_fma_f64 v[12:13], v[38:39], s[6:7], v[14:15]
	v_mul_f64 v[18:19], v[18:19], s[16:17]
	v_add_f64 v[6:7], v[0:1], v[26:27]
	v_add_f64 v[26:27], v[0:1], -v[26:27]
	v_fma_f64 v[34:35], v[24:25], s[16:17], v[10:11]
	v_mul_f64 v[10:11], v[30:31], s[10:11]
	v_mul_f64 v[14:15], v[8:9], s[10:11]
	s_mov_b32 s11, 0xbfd3c6ef
	s_mov_b32 s10, s6
	v_mul_f64 v[30:31], v[30:31], s[6:7]
	v_mul_f64 v[16:17], v[12:13], s[14:15]
	s_mov_b32 s15, 0xbfe9e377
	s_mov_b32 s14, s16
	v_mul_f64 v[8:9], v[8:9], s[10:11]
	v_mul_f64 v[12:13], v[12:13], s[14:15]
	v_fma_f64 v[55:56], v[24:25], s[2:3], v[18:19]
	v_fma_f64 v[38:39], v[20:21], s[6:7], v[10:11]
	;; [unrolled: 1-line block ×5, first 2 shown]
	v_add_f64 v[10:11], v[42:43], v[34:35]
	v_fma_f64 v[59:60], v[28:29], s[4:5], v[8:9]
	v_fma_f64 v[61:62], v[22:23], s[2:3], v[12:13]
	v_add_f64 v[8:9], v[2:3], v[32:33]
	v_add_f64 v[12:13], v[81:82], v[55:56]
	;; [unrolled: 1-line block ×8, first 2 shown]
	v_add_f64 v[0:1], v[67:68], -v[52:53]
	v_add_f64 v[28:29], v[2:3], -v[32:33]
	v_mov_b32_e32 v52, 4
	v_add_f64 v[30:31], v[42:43], -v[34:35]
	v_add_f64 v[32:33], v[81:82], -v[55:56]
	v_lshlrev_b32_sdwa v5, v52, v5 dst_sel:DWORD dst_unused:UNUSED_PAD src0_sel:DWORD src1_sel:BYTE_0
	v_add_f64 v[34:35], v[75:76], -v[38:39]
	v_add_f64 v[38:39], v[36:37], -v[40:41]
	;; [unrolled: 1-line block ×4, first 2 shown]
	v_add3_u32 v4, 0, v4, v5
	v_add_f64 v[2:3], v[69:70], -v[61:62]
	s_barrier
	ds_write_b128 v4, v[6:9]
	ds_write_b128 v4, v[10:13] offset:80
	ds_write_b128 v4, v[14:17] offset:160
	;; [unrolled: 1-line block ×9, first 2 shown]
	s_waitcnt lgkmcnt(0)
	s_barrier
	ds_read_b128 v[12:15], v54
	ds_read_b128 v[8:11], v54 offset:2160
	ds_read_b128 v[40:43], v54 offset:14400
	;; [unrolled: 1-line block ×8, first 2 shown]
                                        ; implicit-def: $vgpr22_vgpr23
                                        ; implicit-def: $vgpr18_vgpr19
	s_and_saveexec_b64 s[2:3], vcc
	s_cbranch_execz .LBB0_19
; %bb.18:
	ds_read_b128 v[0:3], v54 offset:6480
	ds_read_b128 v[16:19], v54 offset:13680
	;; [unrolled: 1-line block ×3, first 2 shown]
.LBB0_19:
	s_or_b64 exec, exec, s[2:3]
	v_mov_b32_e32 v49, 41
	v_mul_lo_u16_sdwa v49, v48, v49 dst_sel:DWORD dst_unused:UNUSED_PAD src0_sel:BYTE_0 src1_sel:DWORD
	v_lshrrev_b16_e32 v53, 11, v49
	v_mul_lo_u16_e32 v49, 50, v53
	v_sub_u16_e32 v83, v48, v49
	v_mov_b32_e32 v49, 5
	v_lshlrev_b32_sdwa v49, v49, v83 dst_sel:DWORD dst_unused:UNUSED_PAD src0_sel:DWORD src1_sel:BYTE_0
	global_load_dwordx4 v[57:60], v49, s[8:9] offset:720
	global_load_dwordx4 v[61:64], v49, s[8:9] offset:736
	v_add_u32_e32 v56, 0x87, v48
	v_lshrrev_b16_e32 v49, 1, v56
	v_mul_u32_u24_e32 v49, 0x147b, v49
	v_lshrrev_b32_e32 v84, 17, v49
	v_mul_lo_u16_e32 v49, 50, v84
	v_sub_u16_e32 v85, v56, v49
	v_lshlrev_b32_e32 v49, 5, v85
	global_load_dwordx4 v[65:68], v49, s[8:9] offset:720
	global_load_dwordx4 v[69:72], v49, s[8:9] offset:736
	v_add_u32_e32 v55, 0x10e, v48
	s_mov_b32 s2, 0xe8584caa
	s_mov_b32 s3, 0xbfebb67a
	s_mov_b32 s5, 0x3febb67a
	s_mov_b32 s4, s2
	s_waitcnt vmcnt(3) lgkmcnt(4)
	v_mul_f64 v[73:74], v[46:47], v[59:60]
	v_mul_f64 v[59:60], v[44:45], v[59:60]
	s_waitcnt vmcnt(2)
	v_mul_f64 v[75:76], v[42:43], v[63:64]
	v_fma_f64 v[73:74], v[44:45], v[57:58], v[73:74]
	v_mul_f64 v[44:45], v[40:41], v[63:64]
	v_fma_f64 v[46:47], v[46:47], v[57:58], -v[59:60]
	v_lshrrev_b16_e32 v57, 1, v55
	v_mul_u32_u24_e32 v49, 0x147b, v57
	v_lshrrev_b32_e32 v86, 17, v49
	v_mul_lo_u16_e32 v49, 50, v86
	v_sub_u16_e32 v87, v55, v49
	v_lshlrev_b32_e32 v77, 5, v87
	v_fma_f64 v[59:60], v[40:41], v[61:62], v[75:76]
	v_fma_f64 v[61:62], v[42:43], v[61:62], -v[44:45]
	global_load_dwordx4 v[40:43], v77, s[8:9] offset:720
	s_waitcnt vmcnt(2) lgkmcnt(2)
	v_mul_f64 v[44:45], v[38:39], v[67:68]
	v_mul_f64 v[63:64], v[36:37], v[67:68]
	s_waitcnt vmcnt(1)
	v_mul_f64 v[67:68], v[34:35], v[71:72]
	v_add_u32_e32 v49, 0x195, v48
	v_lshrrev_b16_e32 v58, 1, v49
	v_fma_f64 v[75:76], v[36:37], v[65:66], v[44:45]
	v_mul_f64 v[44:45], v[32:33], v[71:72]
	v_fma_f64 v[63:64], v[38:39], v[65:66], -v[63:64]
	global_load_dwordx4 v[36:39], v77, s[8:9] offset:736
	v_fma_f64 v[67:68], v[32:33], v[69:70], v[67:68]
	v_mul_u32_u24_e32 v32, 0x147b, v58
	v_lshrrev_b32_e32 v32, 17, v32
	v_mul_lo_u16_e32 v32, 50, v32
	v_sub_u16_e32 v32, v49, v32
	v_fma_f64 v[33:34], v[34:35], v[69:70], -v[44:45]
	v_lshlrev_b32_e32 v35, 5, v32
	v_add_f64 v[71:72], v[63:64], -v[33:34]
	s_waitcnt vmcnt(1) lgkmcnt(1)
	v_mul_f64 v[65:66], v[30:31], v[42:43]
	v_mul_f64 v[69:70], v[28:29], v[42:43]
	global_load_dwordx4 v[42:45], v35, s[8:9] offset:720
	v_fma_f64 v[65:66], v[28:29], v[40:41], v[65:66]
	v_fma_f64 v[40:41], v[30:31], v[40:41], -v[69:70]
	global_load_dwordx4 v[28:31], v35, s[8:9] offset:736
	s_waitcnt vmcnt(2) lgkmcnt(0)
	v_mul_f64 v[69:70], v[26:27], v[38:39]
	v_mul_f64 v[38:39], v[24:25], v[38:39]
	s_waitcnt vmcnt(0)
	s_barrier
	v_add_f64 v[79:80], v[6:7], v[40:41]
	v_fma_f64 v[69:70], v[24:25], v[36:37], v[69:70]
	v_fma_f64 v[35:36], v[26:27], v[36:37], -v[38:39]
	v_add_f64 v[77:78], v[40:41], -v[35:36]
	v_add_f64 v[39:40], v[40:41], v[35:36]
	v_mul_f64 v[24:25], v[18:19], v[44:45]
	v_mul_f64 v[26:27], v[16:17], v[44:45]
	v_add_f64 v[44:45], v[8:9], v[75:76]
	v_mul_f64 v[37:38], v[22:23], v[30:31]
	v_mul_f64 v[30:31], v[20:21], v[30:31]
	v_fma_f64 v[16:17], v[16:17], v[42:43], v[24:25]
	v_fma_f64 v[18:19], v[18:19], v[42:43], -v[26:27]
	v_add_f64 v[24:25], v[12:13], v[73:74]
	v_add_f64 v[26:27], v[14:15], v[46:47]
	v_add_f64 v[42:43], v[73:74], -v[59:60]
	v_fma_f64 v[20:21], v[20:21], v[28:29], v[37:38]
	v_fma_f64 v[22:23], v[22:23], v[28:29], -v[30:31]
	v_add_f64 v[28:29], v[73:74], v[59:60]
	v_add_f64 v[37:38], v[46:47], v[61:62]
	;; [unrolled: 1-line block ×3, first 2 shown]
	v_add_f64 v[30:31], v[46:47], -v[61:62]
	v_add_f64 v[46:47], v[75:76], v[67:68]
	v_add_f64 v[63:64], v[63:64], v[33:34]
	;; [unrolled: 1-line block ×6, first 2 shown]
	v_fma_f64 v[37:38], v[37:38], -0.5, v[14:15]
	v_add_f64 v[14:15], v[73:74], v[33:34]
	v_add_f64 v[33:34], v[16:17], v[20:21]
	;; [unrolled: 1-line block ×3, first 2 shown]
	v_fma_f64 v[28:29], v[28:29], -0.5, v[12:13]
	v_add_f64 v[75:76], v[75:76], -v[67:68]
	v_add_f64 v[12:13], v[44:45], v[67:68]
	v_fma_f64 v[44:45], v[46:47], -0.5, v[8:9]
	v_fma_f64 v[46:47], v[63:64], -0.5, v[10:11]
	v_add_f64 v[65:66], v[65:66], -v[69:70]
	v_add_f64 v[67:68], v[0:1], v[16:17]
	v_add_f64 v[63:64], v[18:19], -v[22:23]
	v_add_f64 v[18:19], v[2:3], v[18:19]
	;; [unrolled: 2-line block ×3, first 2 shown]
	v_fma_f64 v[16:17], v[61:62], -0.5, v[4:5]
	v_fma_f64 v[69:70], v[33:34], -0.5, v[0:1]
	;; [unrolled: 1-line block ×4, first 2 shown]
	v_fma_f64 v[4:5], v[30:31], s[2:3], v[28:29]
	v_fma_f64 v[6:7], v[42:43], s[4:5], v[37:38]
	;; [unrolled: 1-line block ×4, first 2 shown]
	v_add_f64 v[10:11], v[79:80], v[35:36]
	v_fma_f64 v[33:34], v[71:72], s[2:3], v[44:45]
	v_fma_f64 v[35:36], v[75:76], s[4:5], v[46:47]
	;; [unrolled: 1-line block ×6, first 2 shown]
	v_add_f64 v[0:1], v[67:68], v[20:21]
	v_fma_f64 v[16:17], v[63:64], s[2:3], v[69:70]
	v_fma_f64 v[20:21], v[63:64], s[4:5], v[69:70]
	v_add_f64 v[2:3], v[18:19], v[22:23]
	v_fma_f64 v[18:19], v[81:82], s[4:5], v[73:74]
	v_fma_f64 v[22:23], v[81:82], s[2:3], v[73:74]
	;; [unrolled: 1-line block ×4, first 2 shown]
	v_mul_u32_u24_e32 v45, 0x960, v53
	v_lshlrev_b32_sdwa v46, v52, v83 dst_sel:DWORD dst_unused:UNUSED_PAD src0_sel:DWORD src1_sel:BYTE_0
	v_add3_u32 v45, 0, v45, v46
	ds_write_b128 v45, v[24:27]
	ds_write_b128 v45, v[4:7] offset:800
	ds_write_b128 v45, v[28:31] offset:1600
	v_mul_u32_u24_e32 v4, 0x960, v84
	v_lshlrev_b32_e32 v5, 4, v85
	v_add3_u32 v4, 0, v4, v5
	ds_write_b128 v4, v[12:15]
	ds_write_b128 v4, v[33:36] offset:800
	ds_write_b128 v4, v[37:40] offset:1600
	v_mul_u32_u24_e32 v4, 0x960, v86
	v_lshlrev_b32_e32 v5, 4, v87
	v_add3_u32 v4, 0, v4, v5
	ds_write_b128 v4, v[8:11]
	ds_write_b128 v4, v[41:44] offset:800
	ds_write_b128 v4, v[59:62] offset:1600
	s_and_saveexec_b64 s[2:3], vcc
	s_cbranch_execz .LBB0_21
; %bb.20:
	v_lshl_add_u32 v4, v32, 4, 0
	ds_write_b128 v4, v[0:3] offset:19200
	ds_write_b128 v4, v[16:19] offset:20000
	ds_write_b128 v4, v[20:23] offset:20800
.LBB0_21:
	s_or_b64 exec, exec, s[2:3]
	s_waitcnt lgkmcnt(0)
	s_barrier
	ds_read_b128 v[12:15], v54
	ds_read_b128 v[4:7], v54 offset:2160
	ds_read_b128 v[40:43], v54 offset:14400
	ds_read_b128 v[24:27], v54 offset:16560
	ds_read_b128 v[44:47], v54 offset:7200
	ds_read_b128 v[8:11], v54 offset:4320
	ds_read_b128 v[28:31], v54 offset:9360
	ds_read_b128 v[36:39], v54 offset:11520
	ds_read_b128 v[32:35], v54 offset:18720
	s_and_saveexec_b64 s[2:3], vcc
	s_cbranch_execz .LBB0_23
; %bb.22:
	ds_read_b128 v[0:3], v54 offset:6480
	ds_read_b128 v[16:19], v54 offset:13680
	;; [unrolled: 1-line block ×3, first 2 shown]
.LBB0_23:
	s_or_b64 exec, exec, s[2:3]
	v_lshlrev_b32_e32 v70, 1, v48
	v_mov_b32_e32 v71, 0
	v_lshlrev_b64 v[52:53], 4, v[70:71]
	v_mov_b32_e32 v78, s9
	v_add_co_u32_e64 v52, s[2:3], s8, v52
	v_addc_co_u32_e64 v53, s[2:3], v78, v53, s[2:3]
	global_load_dwordx4 v[59:62], v[52:53], off offset:2320
	global_load_dwordx4 v[63:66], v[52:53], off offset:2336
	v_mul_u32_u24_e32 v57, 0xda75, v57
	v_lshrrev_b32_e32 v86, 22, v57
	v_mul_lo_u16_e32 v57, 0x96, v86
	v_sub_u16_e32 v87, v55, v57
	v_lshlrev_b32_e32 v57, 5, v87
	global_load_dwordx4 v[67:70], v57, s[8:9] offset:2320
	v_mul_u32_u24_e32 v58, 0xda75, v58
	v_cmp_gt_u32_e64 s[2:3], 15, v48
	s_waitcnt vmcnt(2) lgkmcnt(4)
	v_mul_f64 v[72:73], v[46:47], v[61:62]
	v_mul_f64 v[61:62], v[44:45], v[61:62]
	v_fma_f64 v[72:73], v[44:45], v[59:60], v[72:73]
	v_fma_f64 v[61:62], v[46:47], v[59:60], -v[61:62]
	global_load_dwordx4 v[44:47], v57, s[8:9] offset:2336
	s_waitcnt vmcnt(2)
	v_mul_f64 v[59:60], v[42:43], v[65:66]
	v_mul_f64 v[65:66], v[40:41], v[65:66]
	v_add_u32_e32 v57, -15, v48
	v_cndmask_b32_e64 v88, v57, v56, s[2:3]
	v_lshrrev_b32_e32 v57, 22, v58
	v_fma_f64 v[74:75], v[40:41], v[63:64], v[59:60]
	v_mul_lo_u16_e32 v40, 0x96, v57
	v_sub_u16_e32 v40, v49, v40
	v_fma_f64 v[63:64], v[42:43], v[63:64], -v[65:66]
	v_lshlrev_b32_e32 v43, 5, v40
	s_waitcnt vmcnt(1) lgkmcnt(1)
	v_mul_f64 v[41:42], v[38:39], v[69:70]
	v_mul_f64 v[65:66], v[36:37], v[69:70]
	global_load_dwordx4 v[57:60], v43, s[8:9] offset:2320
	v_lshlrev_b32_e32 v70, 1, v88
	v_lshlrev_b64 v[69:70], 4, v[70:71]
	v_fma_f64 v[76:77], v[36:37], v[67:68], v[41:42]
	v_fma_f64 v[65:66], v[38:39], v[67:68], -v[65:66]
	global_load_dwordx4 v[36:39], v43, s[8:9] offset:2336
	v_add_co_u32_e64 v67, s[2:3], s8, v69
	v_addc_co_u32_e64 v68, s[2:3], v78, v70, s[2:3]
	s_mov_b32 s2, 0xe8584caa
	s_mov_b32 s3, 0xbfebb67a
	s_mov_b32 s4, s2
	s_waitcnt vmcnt(2) lgkmcnt(0)
	v_mul_f64 v[41:42], v[34:35], v[46:47]
	v_mul_f64 v[46:47], v[32:33], v[46:47]
	v_fma_f64 v[69:70], v[32:33], v[44:45], v[41:42]
	v_fma_f64 v[45:46], v[34:35], v[44:45], -v[46:47]
	global_load_dwordx4 v[32:35], v[67:68], off offset:2320
	global_load_dwordx4 v[41:44], v[67:68], off offset:2336
	s_waitcnt vmcnt(0)
	s_barrier
	v_mul_f64 v[67:68], v[18:19], v[59:60]
	v_mul_f64 v[59:60], v[16:17], v[59:60]
	v_fma_f64 v[67:68], v[16:17], v[57:58], v[67:68]
	v_fma_f64 v[57:58], v[18:19], v[57:58], -v[59:60]
	v_mul_f64 v[16:17], v[22:23], v[38:39]
	v_mul_f64 v[18:19], v[20:21], v[38:39]
	v_add_f64 v[59:60], v[65:66], v[45:46]
	v_fma_f64 v[78:79], v[20:21], v[36:37], v[16:17]
	v_fma_f64 v[80:81], v[22:23], v[36:37], -v[18:19]
	v_add_f64 v[36:37], v[8:9], v[76:77]
	v_mul_f64 v[38:39], v[30:31], v[34:35]
	v_mul_f64 v[34:35], v[28:29], v[34:35]
	;; [unrolled: 1-line block ×4, first 2 shown]
	v_add_f64 v[43:44], v[10:11], v[65:66]
	v_fma_f64 v[10:11], v[59:60], -0.5, v[10:11]
	v_fma_f64 v[20:21], v[28:29], v[32:33], v[38:39]
	v_fma_f64 v[22:23], v[30:31], v[32:33], -v[34:35]
	v_fma_f64 v[24:25], v[24:25], v[41:42], v[16:17]
	v_fma_f64 v[26:27], v[26:27], v[41:42], -v[18:19]
	v_add_f64 v[16:17], v[12:13], v[72:73]
	v_add_f64 v[18:19], v[14:15], v[61:62]
	;; [unrolled: 1-line block ×4, first 2 shown]
	v_add_f64 v[30:31], v[61:62], -v[63:64]
	v_add_f64 v[34:35], v[72:73], -v[74:75]
	v_add_f64 v[38:39], v[76:77], v[69:70]
	v_add_f64 v[41:42], v[65:66], -v[45:46]
	v_add_f64 v[71:72], v[67:68], v[78:79]
	v_add_f64 v[16:17], v[16:17], v[74:75]
	v_add_f64 v[18:19], v[18:19], v[63:64]
	v_add_f64 v[63:64], v[57:58], -v[80:81]
	v_add_f64 v[73:74], v[2:3], v[57:58]
	v_add_f64 v[57:58], v[57:58], v[80:81]
	v_fma_f64 v[32:33], v[32:33], -0.5, v[14:15]
	v_add_f64 v[82:83], v[20:21], v[24:25]
	v_add_f64 v[14:15], v[43:44], v[45:46]
	;; [unrolled: 1-line block ×3, first 2 shown]
	v_add_f64 v[61:62], v[76:77], -v[69:70]
	v_fma_f64 v[28:29], v[28:29], -0.5, v[12:13]
	v_add_f64 v[75:76], v[4:5], v[20:21]
	v_add_f64 v[12:13], v[36:37], v[69:70]
	;; [unrolled: 1-line block ×4, first 2 shown]
	v_add_f64 v[43:44], v[22:23], -v[26:27]
	v_add_f64 v[69:70], v[20:21], -v[24:25]
	v_fma_f64 v[8:9], v[38:39], -0.5, v[8:9]
	v_fma_f64 v[71:72], v[71:72], -0.5, v[0:1]
	;; [unrolled: 1-line block ×5, first 2 shown]
	v_add_f64 v[67:68], v[67:68], -v[78:79]
	v_add_f64 v[20:21], v[75:76], v[24:25]
	v_add_f64 v[22:23], v[36:37], v[26:27]
	v_fma_f64 v[24:25], v[30:31], s[2:3], v[28:29]
	v_fma_f64 v[26:27], v[34:35], s[4:5], v[32:33]
	;; [unrolled: 1-line block ×12, first 2 shown]
	v_add_f64 v[0:1], v[65:66], v[78:79]
	v_fma_f64 v[4:5], v[63:64], s[2:3], v[71:72]
	v_fma_f64 v[8:9], v[63:64], s[4:5], v[71:72]
	v_add_f64 v[2:3], v[73:74], v[80:81]
	v_fma_f64 v[6:7], v[67:68], s[4:5], v[84:85]
	v_fma_f64 v[10:11], v[67:68], s[2:3], v[84:85]
	ds_write_b128 v54, v[16:19]
	ds_write_b128 v54, v[24:27] offset:2400
	ds_write_b128 v54, v[28:31] offset:4800
	v_mov_b32_e32 v16, 0x1c20
	v_cmp_lt_u32_e64 s[2:3], 14, v48
	v_cndmask_b32_e64 v16, 0, v16, s[2:3]
	v_lshlrev_b32_e32 v17, 4, v88
	v_add3_u32 v16, 0, v16, v17
	ds_write_b128 v16, v[20:23]
	ds_write_b128 v16, v[41:44] offset:2400
	ds_write_b128 v16, v[57:60] offset:4800
	v_mul_u32_u24_e32 v16, 0x1c20, v86
	v_lshlrev_b32_e32 v17, 4, v87
	v_add3_u32 v16, 0, v16, v17
	ds_write_b128 v16, v[12:15]
	ds_write_b128 v16, v[32:35] offset:2400
	ds_write_b128 v16, v[36:39] offset:4800
	s_and_saveexec_b64 s[2:3], vcc
	s_cbranch_execz .LBB0_25
; %bb.24:
	v_lshl_add_u32 v12, v40, 4, 0
	ds_write_b128 v12, v[0:3] offset:14400
	ds_write_b128 v12, v[4:7] offset:16800
	;; [unrolled: 1-line block ×3, first 2 shown]
.LBB0_25:
	s_or_b64 exec, exec, s[2:3]
	s_waitcnt lgkmcnt(0)
	s_barrier
	ds_read_b128 v[20:23], v54
	ds_read_b128 v[16:19], v54 offset:2160
	ds_read_b128 v[40:43], v54 offset:14400
	;; [unrolled: 1-line block ×8, first 2 shown]
	s_and_saveexec_b64 s[2:3], vcc
	s_cbranch_execz .LBB0_27
; %bb.26:
	ds_read_b128 v[0:3], v54 offset:6480
	ds_read_b128 v[4:7], v54 offset:13680
	;; [unrolled: 1-line block ×3, first 2 shown]
.LBB0_27:
	s_or_b64 exec, exec, s[2:3]
	s_movk_i32 s4, 0x1bd0
	v_add_co_u32_e64 v65, s[2:3], s4, v52
	v_addc_co_u32_e64 v66, s[2:3], 0, v53, s[2:3]
	s_movk_i32 s10, 0x1000
	v_add_co_u32_e64 v52, s[2:3], s10, v52
	v_addc_co_u32_e64 v53, s[2:3], 0, v53, s[2:3]
	global_load_dwordx4 v[57:60], v[52:53], off offset:3024
	global_load_dwordx4 v[61:64], v[65:66], off offset:16
	s_waitcnt vmcnt(1) lgkmcnt(4)
	v_mul_f64 v[52:53], v[46:47], v[59:60]
	v_fma_f64 v[52:53], v[44:45], v[57:58], v[52:53]
	v_mul_f64 v[44:45], v[44:45], v[59:60]
	v_fma_f64 v[46:47], v[46:47], v[57:58], -v[44:45]
	s_waitcnt vmcnt(0)
	v_mul_f64 v[44:45], v[42:43], v[63:64]
	v_fma_f64 v[65:66], v[40:41], v[61:62], v[44:45]
	v_mul_f64 v[40:41], v[40:41], v[63:64]
	v_mov_b32_e32 v64, s9
	v_fma_f64 v[60:61], v[42:43], v[61:62], -v[40:41]
	v_lshlrev_b32_e32 v40, 1, v56
	v_mov_b32_e32 v41, 0
	v_lshlrev_b64 v[42:43], 4, v[40:41]
	v_add_co_u32_e64 v40, s[2:3], s8, v42
	v_addc_co_u32_e64 v42, s[2:3], v64, v43, s[2:3]
	v_add_co_u32_e64 v62, s[2:3], s4, v40
	v_addc_co_u32_e64 v63, s[2:3], 0, v42, s[2:3]
	;; [unrolled: 2-line block ×3, first 2 shown]
	global_load_dwordx4 v[42:45], v[67:68], off offset:3024
	global_load_dwordx4 v[56:59], v[62:63], off offset:16
	v_lshlrev_b32_e32 v40, 1, v55
	s_waitcnt vmcnt(1) lgkmcnt(2)
	v_mul_f64 v[62:63], v[38:39], v[44:45]
	v_fma_f64 v[62:63], v[36:37], v[42:43], v[62:63]
	v_mul_f64 v[36:37], v[36:37], v[44:45]
	v_fma_f64 v[42:43], v[38:39], v[42:43], -v[36:37]
	s_waitcnt vmcnt(0)
	v_mul_f64 v[36:37], v[34:35], v[58:59]
	v_fma_f64 v[44:45], v[32:33], v[56:57], v[36:37]
	v_mul_f64 v[32:33], v[32:33], v[58:59]
	v_fma_f64 v[56:57], v[34:35], v[56:57], -v[32:33]
	v_lshlrev_b64 v[32:33], 4, v[40:41]
	v_add_co_u32_e64 v32, s[2:3], s8, v32
	v_addc_co_u32_e64 v33, s[2:3], v64, v33, s[2:3]
	v_add_co_u32_e64 v58, s[2:3], s4, v32
	v_addc_co_u32_e64 v59, s[2:3], 0, v33, s[2:3]
	;; [unrolled: 2-line block ×3, first 2 shown]
	global_load_dwordx4 v[32:35], v[67:68], off offset:3024
	global_load_dwordx4 v[36:39], v[58:59], off offset:16
	s_mov_b32 s2, 0xe8584caa
	s_mov_b32 s3, 0xbfebb67a
	;; [unrolled: 1-line block ×3, first 2 shown]
	s_waitcnt vmcnt(0) lgkmcnt(0)
	s_barrier
	v_mul_f64 v[58:59], v[30:31], v[34:35]
	v_fma_f64 v[58:59], v[28:29], v[32:33], v[58:59]
	v_mul_f64 v[28:29], v[28:29], v[34:35]
	v_add_f64 v[34:35], v[62:63], v[44:45]
	v_fma_f64 v[67:68], v[30:31], v[32:33], -v[28:29]
	v_mul_f64 v[28:29], v[26:27], v[38:39]
	v_add_f64 v[30:31], v[46:47], v[60:61]
	v_add_f64 v[32:33], v[52:53], -v[65:66]
	v_fma_f64 v[34:35], v[34:35], -0.5, v[16:17]
	v_fma_f64 v[69:70], v[24:25], v[36:37], v[28:29]
	v_mul_f64 v[24:25], v[24:25], v[38:39]
	v_add_f64 v[28:29], v[46:47], -v[60:61]
	v_fma_f64 v[30:31], v[30:31], -0.5, v[22:23]
	v_add_f64 v[38:39], v[42:43], v[56:57]
	v_fma_f64 v[71:72], v[26:27], v[36:37], -v[24:25]
	v_add_f64 v[26:27], v[52:53], v[65:66]
	v_add_f64 v[24:25], v[20:21], v[52:53]
	v_add_f64 v[36:37], v[42:43], -v[56:57]
	v_fma_f64 v[38:39], v[38:39], -0.5, v[18:19]
	v_add_f64 v[52:53], v[58:59], -v[69:70]
	v_fma_f64 v[26:27], v[26:27], -0.5, v[20:21]
	v_add_f64 v[24:25], v[24:25], v[65:66]
	v_fma_f64 v[20:21], v[28:29], s[2:3], v[26:27]
	v_fma_f64 v[28:29], v[28:29], s[4:5], v[26:27]
	v_add_f64 v[26:27], v[22:23], v[46:47]
	v_fma_f64 v[22:23], v[32:33], s[4:5], v[30:31]
	v_fma_f64 v[30:31], v[32:33], s[2:3], v[30:31]
	;; [unrolled: 3-line block ×3, first 2 shown]
	v_add_f64 v[34:35], v[18:19], v[42:43]
	v_add_f64 v[42:43], v[62:63], -v[44:45]
	v_add_f64 v[46:47], v[67:68], -v[71:72]
	v_add_f64 v[26:27], v[26:27], v[60:61]
	v_add_f64 v[32:33], v[32:33], v[44:45]
	;; [unrolled: 1-line block ×4, first 2 shown]
	v_fma_f64 v[18:19], v[42:43], s[4:5], v[38:39]
	v_fma_f64 v[38:39], v[42:43], s[2:3], v[38:39]
	v_add_f64 v[42:43], v[12:13], v[58:59]
	v_fma_f64 v[44:45], v[44:45], -0.5, v[12:13]
	v_add_f64 v[42:43], v[42:43], v[69:70]
	v_fma_f64 v[12:13], v[46:47], s[2:3], v[44:45]
	v_fma_f64 v[55:56], v[46:47], s[4:5], v[44:45]
	v_add_f64 v[46:47], v[67:68], v[71:72]
	v_add_f64 v[44:45], v[14:15], v[67:68]
	v_fma_f64 v[46:47], v[46:47], -0.5, v[14:15]
	v_add_f64 v[44:45], v[44:45], v[71:72]
	v_fma_f64 v[14:15], v[52:53], s[4:5], v[46:47]
	v_fma_f64 v[57:58], v[52:53], s[2:3], v[46:47]
	ds_write_b128 v54, v[24:27]
	ds_write_b128 v54, v[20:23] offset:7200
	ds_write_b128 v54, v[28:31] offset:14400
	ds_write_b128 v54, v[32:35] offset:2160
	ds_write_b128 v54, v[16:19] offset:9360
	ds_write_b128 v54, v[36:39] offset:16560
	ds_write_b128 v54, v[42:45] offset:4320
	ds_write_b128 v54, v[12:15] offset:11520
	ds_write_b128 v54, v[55:58] offset:18720
	s_and_saveexec_b64 s[6:7], vcc
	s_cbranch_execz .LBB0_29
; %bb.28:
	v_subrev_u32_e32 v12, 45, v48
	v_cndmask_b32_e32 v12, v12, v49, vcc
	v_lshlrev_b32_e32 v40, 1, v12
	v_lshlrev_b64 v[12:13], 4, v[40:41]
	v_mov_b32_e32 v14, s9
	v_add_co_u32_e32 v12, vcc, s8, v12
	v_addc_co_u32_e32 v13, vcc, v14, v13, vcc
	v_add_co_u32_e32 v20, vcc, 0x1bd0, v12
	v_addc_co_u32_e32 v21, vcc, 0, v13, vcc
	;; [unrolled: 2-line block ×3, first 2 shown]
	global_load_dwordx4 v[12:15], v[22:23], off offset:3024
	global_load_dwordx4 v[16:19], v[20:21], off offset:16
	s_waitcnt vmcnt(1)
	v_mul_f64 v[20:21], v[4:5], v[14:15]
	s_waitcnt vmcnt(0)
	v_mul_f64 v[22:23], v[8:9], v[18:19]
	v_mul_f64 v[14:15], v[6:7], v[14:15]
	;; [unrolled: 1-line block ×3, first 2 shown]
	v_fma_f64 v[6:7], v[6:7], v[12:13], -v[20:21]
	v_fma_f64 v[10:11], v[10:11], v[16:17], -v[22:23]
	v_fma_f64 v[4:5], v[4:5], v[12:13], v[14:15]
	v_fma_f64 v[8:9], v[8:9], v[16:17], v[18:19]
	v_add_f64 v[18:19], v[2:3], v[6:7]
	v_add_f64 v[12:13], v[6:7], v[10:11]
	v_add_f64 v[20:21], v[6:7], -v[10:11]
	v_add_f64 v[14:15], v[4:5], v[8:9]
	v_add_f64 v[16:17], v[4:5], -v[8:9]
	v_add_f64 v[4:5], v[0:1], v[4:5]
	v_fma_f64 v[12:13], v[12:13], -0.5, v[2:3]
	v_add_f64 v[2:3], v[18:19], v[10:11]
	v_fma_f64 v[14:15], v[14:15], -0.5, v[0:1]
	v_add_f64 v[0:1], v[4:5], v[8:9]
	v_fma_f64 v[10:11], v[16:17], s[4:5], v[12:13]
	v_fma_f64 v[6:7], v[16:17], s[2:3], v[12:13]
	;; [unrolled: 1-line block ×4, first 2 shown]
	ds_write_b128 v54, v[0:3] offset:6480
	ds_write_b128 v54, v[8:11] offset:13680
	;; [unrolled: 1-line block ×3, first 2 shown]
.LBB0_29:
	s_or_b64 exec, exec, s[6:7]
	s_waitcnt lgkmcnt(0)
	s_barrier
	s_and_saveexec_b64 s[2:3], s[0:1]
	s_cbranch_execz .LBB0_31
; %bb.30:
	v_lshl_add_u32 v10, v48, 4, 0
	v_mov_b32_e32 v49, 0
	ds_read_b128 v[0:3], v10
	v_mov_b32_e32 v4, s13
	v_add_co_u32_e32 v11, vcc, s12, v50
	v_addc_co_u32_e32 v12, vcc, v4, v51, vcc
	v_lshlrev_b64 v[4:5], 4, v[48:49]
	v_add_co_u32_e32 v8, vcc, v11, v4
	v_addc_co_u32_e32 v9, vcc, v12, v5, vcc
	ds_read_b128 v[4:7], v10 offset:2160
	s_waitcnt lgkmcnt(1)
	global_store_dwordx4 v[8:9], v[0:3], off
	s_nop 0
	v_add_u32_e32 v0, 0x87, v48
	v_mov_b32_e32 v1, v49
	v_lshlrev_b64 v[0:1], 4, v[0:1]
	v_add_co_u32_e32 v0, vcc, v11, v0
	v_addc_co_u32_e32 v1, vcc, v12, v1, vcc
	s_waitcnt lgkmcnt(0)
	global_store_dwordx4 v[0:1], v[4:7], off
	ds_read_b128 v[0:3], v10 offset:4320
	v_add_u32_e32 v4, 0x10e, v48
	v_mov_b32_e32 v5, v49
	v_lshlrev_b64 v[4:5], 4, v[4:5]
	v_add_co_u32_e32 v8, vcc, v11, v4
	v_addc_co_u32_e32 v9, vcc, v12, v5, vcc
	ds_read_b128 v[4:7], v10 offset:6480
	s_waitcnt lgkmcnt(1)
	global_store_dwordx4 v[8:9], v[0:3], off
	s_nop 0
	v_add_u32_e32 v0, 0x195, v48
	v_mov_b32_e32 v1, v49
	v_lshlrev_b64 v[0:1], 4, v[0:1]
	v_add_co_u32_e32 v0, vcc, v11, v0
	v_addc_co_u32_e32 v1, vcc, v12, v1, vcc
	s_waitcnt lgkmcnt(0)
	global_store_dwordx4 v[0:1], v[4:7], off
	ds_read_b128 v[0:3], v10 offset:8640
	v_add_u32_e32 v4, 0x21c, v48
	v_mov_b32_e32 v5, v49
	;; [unrolled: 17-line block ×4, first 2 shown]
	v_lshlrev_b64 v[4:5], 4, v[4:5]
	v_add_u32_e32 v48, 0x4bf, v48
	v_add_co_u32_e32 v8, vcc, v11, v4
	v_addc_co_u32_e32 v9, vcc, v12, v5, vcc
	ds_read_b128 v[4:7], v10 offset:19440
	s_waitcnt lgkmcnt(1)
	global_store_dwordx4 v[8:9], v[0:3], off
	s_nop 0
	v_lshlrev_b64 v[0:1], 4, v[48:49]
	v_add_co_u32_e32 v0, vcc, v11, v0
	v_addc_co_u32_e32 v1, vcc, v12, v1, vcc
	s_waitcnt lgkmcnt(0)
	global_store_dwordx4 v[0:1], v[4:7], off
.LBB0_31:
	s_endpgm
	.section	.rodata,"a",@progbits
	.p2align	6, 0x0
	.amdhsa_kernel fft_rtc_back_len1350_factors_5_10_3_3_3_wgs_135_tpt_135_halfLds_dp_ip_CI_unitstride_sbrr_C2R_dirReg
		.amdhsa_group_segment_fixed_size 0
		.amdhsa_private_segment_fixed_size 0
		.amdhsa_kernarg_size 88
		.amdhsa_user_sgpr_count 6
		.amdhsa_user_sgpr_private_segment_buffer 1
		.amdhsa_user_sgpr_dispatch_ptr 0
		.amdhsa_user_sgpr_queue_ptr 0
		.amdhsa_user_sgpr_kernarg_segment_ptr 1
		.amdhsa_user_sgpr_dispatch_id 0
		.amdhsa_user_sgpr_flat_scratch_init 0
		.amdhsa_user_sgpr_private_segment_size 0
		.amdhsa_uses_dynamic_stack 0
		.amdhsa_system_sgpr_private_segment_wavefront_offset 0
		.amdhsa_system_sgpr_workgroup_id_x 1
		.amdhsa_system_sgpr_workgroup_id_y 0
		.amdhsa_system_sgpr_workgroup_id_z 0
		.amdhsa_system_sgpr_workgroup_info 0
		.amdhsa_system_vgpr_workitem_id 0
		.amdhsa_next_free_vgpr 89
		.amdhsa_next_free_sgpr 22
		.amdhsa_reserve_vcc 1
		.amdhsa_reserve_flat_scratch 0
		.amdhsa_float_round_mode_32 0
		.amdhsa_float_round_mode_16_64 0
		.amdhsa_float_denorm_mode_32 3
		.amdhsa_float_denorm_mode_16_64 3
		.amdhsa_dx10_clamp 1
		.amdhsa_ieee_mode 1
		.amdhsa_fp16_overflow 0
		.amdhsa_exception_fp_ieee_invalid_op 0
		.amdhsa_exception_fp_denorm_src 0
		.amdhsa_exception_fp_ieee_div_zero 0
		.amdhsa_exception_fp_ieee_overflow 0
		.amdhsa_exception_fp_ieee_underflow 0
		.amdhsa_exception_fp_ieee_inexact 0
		.amdhsa_exception_int_div_zero 0
	.end_amdhsa_kernel
	.text
.Lfunc_end0:
	.size	fft_rtc_back_len1350_factors_5_10_3_3_3_wgs_135_tpt_135_halfLds_dp_ip_CI_unitstride_sbrr_C2R_dirReg, .Lfunc_end0-fft_rtc_back_len1350_factors_5_10_3_3_3_wgs_135_tpt_135_halfLds_dp_ip_CI_unitstride_sbrr_C2R_dirReg
                                        ; -- End function
	.section	.AMDGPU.csdata,"",@progbits
; Kernel info:
; codeLenInByte = 9760
; NumSgprs: 26
; NumVgprs: 89
; ScratchSize: 0
; MemoryBound: 0
; FloatMode: 240
; IeeeMode: 1
; LDSByteSize: 0 bytes/workgroup (compile time only)
; SGPRBlocks: 3
; VGPRBlocks: 22
; NumSGPRsForWavesPerEU: 26
; NumVGPRsForWavesPerEU: 89
; Occupancy: 2
; WaveLimiterHint : 1
; COMPUTE_PGM_RSRC2:SCRATCH_EN: 0
; COMPUTE_PGM_RSRC2:USER_SGPR: 6
; COMPUTE_PGM_RSRC2:TRAP_HANDLER: 0
; COMPUTE_PGM_RSRC2:TGID_X_EN: 1
; COMPUTE_PGM_RSRC2:TGID_Y_EN: 0
; COMPUTE_PGM_RSRC2:TGID_Z_EN: 0
; COMPUTE_PGM_RSRC2:TIDIG_COMP_CNT: 0
	.type	__hip_cuid_2cc78b350a93f8a5,@object ; @__hip_cuid_2cc78b350a93f8a5
	.section	.bss,"aw",@nobits
	.globl	__hip_cuid_2cc78b350a93f8a5
__hip_cuid_2cc78b350a93f8a5:
	.byte	0                               ; 0x0
	.size	__hip_cuid_2cc78b350a93f8a5, 1

	.ident	"AMD clang version 19.0.0git (https://github.com/RadeonOpenCompute/llvm-project roc-6.4.0 25133 c7fe45cf4b819c5991fe208aaa96edf142730f1d)"
	.section	".note.GNU-stack","",@progbits
	.addrsig
	.addrsig_sym __hip_cuid_2cc78b350a93f8a5
	.amdgpu_metadata
---
amdhsa.kernels:
  - .args:
      - .actual_access:  read_only
        .address_space:  global
        .offset:         0
        .size:           8
        .value_kind:     global_buffer
      - .offset:         8
        .size:           8
        .value_kind:     by_value
      - .actual_access:  read_only
        .address_space:  global
        .offset:         16
        .size:           8
        .value_kind:     global_buffer
      - .actual_access:  read_only
        .address_space:  global
        .offset:         24
        .size:           8
        .value_kind:     global_buffer
      - .offset:         32
        .size:           8
        .value_kind:     by_value
      - .actual_access:  read_only
        .address_space:  global
        .offset:         40
        .size:           8
        .value_kind:     global_buffer
      - .actual_access:  read_only
        .address_space:  global
        .offset:         48
        .size:           8
        .value_kind:     global_buffer
      - .offset:         56
        .size:           4
        .value_kind:     by_value
      - .actual_access:  read_only
        .address_space:  global
        .offset:         64
        .size:           8
        .value_kind:     global_buffer
      - .actual_access:  read_only
        .address_space:  global
        .offset:         72
        .size:           8
        .value_kind:     global_buffer
      - .address_space:  global
        .offset:         80
        .size:           8
        .value_kind:     global_buffer
    .group_segment_fixed_size: 0
    .kernarg_segment_align: 8
    .kernarg_segment_size: 88
    .language:       OpenCL C
    .language_version:
      - 2
      - 0
    .max_flat_workgroup_size: 135
    .name:           fft_rtc_back_len1350_factors_5_10_3_3_3_wgs_135_tpt_135_halfLds_dp_ip_CI_unitstride_sbrr_C2R_dirReg
    .private_segment_fixed_size: 0
    .sgpr_count:     26
    .sgpr_spill_count: 0
    .symbol:         fft_rtc_back_len1350_factors_5_10_3_3_3_wgs_135_tpt_135_halfLds_dp_ip_CI_unitstride_sbrr_C2R_dirReg.kd
    .uniform_work_group_size: 1
    .uses_dynamic_stack: false
    .vgpr_count:     89
    .vgpr_spill_count: 0
    .wavefront_size: 64
amdhsa.target:   amdgcn-amd-amdhsa--gfx906
amdhsa.version:
  - 1
  - 2
...

	.end_amdgpu_metadata
